;; amdgpu-corpus repo=ROCm/rocFFT kind=compiled arch=gfx906 opt=O3
	.text
	.amdgcn_target "amdgcn-amd-amdhsa--gfx906"
	.amdhsa_code_object_version 6
	.protected	fft_rtc_back_len748_factors_17_4_11_wgs_204_tpt_68_halfLds_sp_op_CI_CI_unitstride_sbrr_dirReg ; -- Begin function fft_rtc_back_len748_factors_17_4_11_wgs_204_tpt_68_halfLds_sp_op_CI_CI_unitstride_sbrr_dirReg
	.globl	fft_rtc_back_len748_factors_17_4_11_wgs_204_tpt_68_halfLds_sp_op_CI_CI_unitstride_sbrr_dirReg
	.p2align	8
	.type	fft_rtc_back_len748_factors_17_4_11_wgs_204_tpt_68_halfLds_sp_op_CI_CI_unitstride_sbrr_dirReg,@function
fft_rtc_back_len748_factors_17_4_11_wgs_204_tpt_68_halfLds_sp_op_CI_CI_unitstride_sbrr_dirReg: ; @fft_rtc_back_len748_factors_17_4_11_wgs_204_tpt_68_halfLds_sp_op_CI_CI_unitstride_sbrr_dirReg
; %bb.0:
	v_mul_u32_u24_e32 v1, 0x3c4, v0
	s_load_dwordx4 s[8:11], s[4:5], 0x58
	s_load_dwordx4 s[12:15], s[4:5], 0x0
	;; [unrolled: 1-line block ×3, first 2 shown]
	v_lshrrev_b32_e32 v1, 16, v1
	v_mad_u64_u32 v[19:20], s[0:1], s6, 3, v[1:2]
	v_mov_b32_e32 v1, 0
	s_waitcnt lgkmcnt(0)
	v_cmp_lt_u64_e64 s[0:1], s[14:15], 2
	v_mov_b32_e32 v44, 0
	v_mov_b32_e32 v20, v1
	;; [unrolled: 1-line block ×5, first 2 shown]
	s_and_b64 vcc, exec, s[0:1]
	v_mov_b32_e32 v13, v45
	v_mov_b32_e32 v16, v20
	s_cbranch_vccnz .LBB0_8
; %bb.1:
	s_load_dwordx2 s[0:1], s[4:5], 0x10
	s_add_u32 s2, s18, 8
	s_addc_u32 s3, s19, 0
	s_add_u32 s6, s16, 8
	s_addc_u32 s7, s17, 0
	v_mov_b32_e32 v44, 0
	s_waitcnt lgkmcnt(0)
	s_add_u32 s20, s0, 8
	v_mov_b32_e32 v45, 0
	v_mov_b32_e32 v12, v44
	;; [unrolled: 1-line block ×3, first 2 shown]
	s_addc_u32 s21, s1, 0
	s_mov_b64 s[22:23], 1
	v_mov_b32_e32 v13, v45
	v_mov_b32_e32 v4, v20
.LBB0_2:                                ; =>This Inner Loop Header: Depth=1
	s_load_dwordx2 s[24:25], s[20:21], 0x0
                                        ; implicit-def: $vgpr15_vgpr16
	s_waitcnt lgkmcnt(0)
	v_or_b32_e32 v2, s25, v4
	v_cmp_ne_u64_e32 vcc, 0, v[1:2]
	s_and_saveexec_b64 s[0:1], vcc
	s_xor_b64 s[26:27], exec, s[0:1]
	s_cbranch_execz .LBB0_4
; %bb.3:                                ;   in Loop: Header=BB0_2 Depth=1
	v_cvt_f32_u32_e32 v2, s24
	v_cvt_f32_u32_e32 v5, s25
	s_sub_u32 s0, 0, s24
	s_subb_u32 s1, 0, s25
	v_mac_f32_e32 v2, 0x4f800000, v5
	v_rcp_f32_e32 v2, v2
	v_mul_f32_e32 v2, 0x5f7ffffc, v2
	v_mul_f32_e32 v5, 0x2f800000, v2
	v_trunc_f32_e32 v5, v5
	v_mac_f32_e32 v2, 0xcf800000, v5
	v_cvt_u32_f32_e32 v5, v5
	v_cvt_u32_f32_e32 v2, v2
	v_mul_lo_u32 v6, s0, v5
	v_mul_hi_u32 v7, s0, v2
	v_mul_lo_u32 v9, s1, v2
	v_mul_lo_u32 v8, s0, v2
	v_add_u32_e32 v6, v7, v6
	v_add_u32_e32 v6, v6, v9
	v_mul_hi_u32 v7, v2, v8
	v_mul_lo_u32 v9, v2, v6
	v_mul_hi_u32 v11, v2, v6
	v_mul_hi_u32 v10, v5, v8
	v_mul_lo_u32 v8, v5, v8
	v_mul_hi_u32 v14, v5, v6
	v_add_co_u32_e32 v7, vcc, v7, v9
	v_addc_co_u32_e32 v9, vcc, 0, v11, vcc
	v_mul_lo_u32 v6, v5, v6
	v_add_co_u32_e32 v7, vcc, v7, v8
	v_addc_co_u32_e32 v7, vcc, v9, v10, vcc
	v_addc_co_u32_e32 v8, vcc, 0, v14, vcc
	v_add_co_u32_e32 v6, vcc, v7, v6
	v_addc_co_u32_e32 v7, vcc, 0, v8, vcc
	v_add_co_u32_e32 v2, vcc, v2, v6
	v_addc_co_u32_e32 v5, vcc, v5, v7, vcc
	v_mul_lo_u32 v6, s0, v5
	v_mul_hi_u32 v7, s0, v2
	v_mul_lo_u32 v8, s1, v2
	v_mul_lo_u32 v9, s0, v2
	v_add_u32_e32 v6, v7, v6
	v_add_u32_e32 v6, v6, v8
	v_mul_lo_u32 v10, v2, v6
	v_mul_hi_u32 v11, v2, v9
	v_mul_hi_u32 v14, v2, v6
	;; [unrolled: 1-line block ×3, first 2 shown]
	v_mul_lo_u32 v9, v5, v9
	v_mul_hi_u32 v7, v5, v6
	v_add_co_u32_e32 v10, vcc, v11, v10
	v_addc_co_u32_e32 v11, vcc, 0, v14, vcc
	v_mul_lo_u32 v6, v5, v6
	v_add_co_u32_e32 v9, vcc, v10, v9
	v_addc_co_u32_e32 v8, vcc, v11, v8, vcc
	v_addc_co_u32_e32 v7, vcc, 0, v7, vcc
	v_add_co_u32_e32 v6, vcc, v8, v6
	v_addc_co_u32_e32 v7, vcc, 0, v7, vcc
	v_add_co_u32_e32 v2, vcc, v2, v6
	v_addc_co_u32_e32 v7, vcc, v5, v7, vcc
	v_mad_u64_u32 v[5:6], s[0:1], v3, v7, 0
	v_mul_hi_u32 v8, v3, v2
	v_add_co_u32_e32 v9, vcc, v8, v5
	v_addc_co_u32_e32 v10, vcc, 0, v6, vcc
	v_mad_u64_u32 v[5:6], s[0:1], v4, v2, 0
	v_mad_u64_u32 v[7:8], s[0:1], v4, v7, 0
	v_add_co_u32_e32 v2, vcc, v9, v5
	v_addc_co_u32_e32 v2, vcc, v10, v6, vcc
	v_addc_co_u32_e32 v5, vcc, 0, v8, vcc
	v_add_co_u32_e32 v2, vcc, v2, v7
	v_addc_co_u32_e32 v7, vcc, 0, v5, vcc
	v_mul_lo_u32 v8, s25, v2
	v_mul_lo_u32 v9, s24, v7
	v_mad_u64_u32 v[5:6], s[0:1], s24, v2, 0
	v_add3_u32 v6, v6, v9, v8
	v_sub_u32_e32 v8, v4, v6
	v_mov_b32_e32 v9, s25
	v_sub_co_u32_e32 v5, vcc, v3, v5
	v_subb_co_u32_e64 v8, s[0:1], v8, v9, vcc
	v_subrev_co_u32_e64 v9, s[0:1], s24, v5
	v_subbrev_co_u32_e64 v8, s[0:1], 0, v8, s[0:1]
	v_cmp_le_u32_e64 s[0:1], s25, v8
	v_cndmask_b32_e64 v10, 0, -1, s[0:1]
	v_cmp_le_u32_e64 s[0:1], s24, v9
	v_cndmask_b32_e64 v9, 0, -1, s[0:1]
	v_cmp_eq_u32_e64 s[0:1], s25, v8
	v_cndmask_b32_e64 v8, v10, v9, s[0:1]
	v_add_co_u32_e64 v9, s[0:1], 2, v2
	v_addc_co_u32_e64 v10, s[0:1], 0, v7, s[0:1]
	v_add_co_u32_e64 v11, s[0:1], 1, v2
	v_addc_co_u32_e64 v14, s[0:1], 0, v7, s[0:1]
	v_subb_co_u32_e32 v6, vcc, v4, v6, vcc
	v_cmp_ne_u32_e64 s[0:1], 0, v8
	v_cmp_le_u32_e32 vcc, s25, v6
	v_cndmask_b32_e64 v8, v14, v10, s[0:1]
	v_cndmask_b32_e64 v10, 0, -1, vcc
	v_cmp_le_u32_e32 vcc, s24, v5
	v_cndmask_b32_e64 v5, 0, -1, vcc
	v_cmp_eq_u32_e32 vcc, s25, v6
	v_cndmask_b32_e32 v5, v10, v5, vcc
	v_cmp_ne_u32_e32 vcc, 0, v5
	v_cndmask_b32_e64 v5, v11, v9, s[0:1]
	v_cndmask_b32_e32 v16, v7, v8, vcc
	v_cndmask_b32_e32 v15, v2, v5, vcc
.LBB0_4:                                ;   in Loop: Header=BB0_2 Depth=1
	s_andn2_saveexec_b64 s[0:1], s[26:27]
	s_cbranch_execz .LBB0_6
; %bb.5:                                ;   in Loop: Header=BB0_2 Depth=1
	v_cvt_f32_u32_e32 v2, s24
	s_sub_i32 s26, 0, s24
	v_mov_b32_e32 v16, v1
	v_rcp_iflag_f32_e32 v2, v2
	v_mul_f32_e32 v2, 0x4f7ffffe, v2
	v_cvt_u32_f32_e32 v2, v2
	v_mul_lo_u32 v5, s26, v2
	v_mul_hi_u32 v5, v2, v5
	v_add_u32_e32 v2, v2, v5
	v_mul_hi_u32 v2, v3, v2
	v_mul_lo_u32 v5, v2, s24
	v_add_u32_e32 v6, 1, v2
	v_sub_u32_e32 v5, v3, v5
	v_subrev_u32_e32 v7, s24, v5
	v_cmp_le_u32_e32 vcc, s24, v5
	v_cndmask_b32_e32 v5, v5, v7, vcc
	v_cndmask_b32_e32 v2, v2, v6, vcc
	v_add_u32_e32 v6, 1, v2
	v_cmp_le_u32_e32 vcc, s24, v5
	v_cndmask_b32_e32 v15, v2, v6, vcc
.LBB0_6:                                ;   in Loop: Header=BB0_2 Depth=1
	s_or_b64 exec, exec, s[0:1]
	v_mul_lo_u32 v2, v16, s24
	v_mul_lo_u32 v7, v15, s25
	v_mad_u64_u32 v[5:6], s[0:1], v15, s24, 0
	s_load_dwordx2 s[0:1], s[6:7], 0x0
	s_load_dwordx2 s[24:25], s[2:3], 0x0
	v_add3_u32 v2, v6, v7, v2
	v_sub_co_u32_e32 v3, vcc, v3, v5
	v_subb_co_u32_e32 v2, vcc, v4, v2, vcc
	s_waitcnt lgkmcnt(0)
	v_mul_lo_u32 v4, s0, v2
	v_mul_lo_u32 v5, s1, v3
	v_mad_u64_u32 v[44:45], s[0:1], s0, v3, v[44:45]
	v_mul_lo_u32 v2, s24, v2
	v_mul_lo_u32 v6, s25, v3
	v_mad_u64_u32 v[12:13], s[0:1], s24, v3, v[12:13]
	s_add_u32 s22, s22, 1
	s_addc_u32 s23, s23, 0
	s_add_u32 s2, s2, 8
	v_add3_u32 v13, v6, v13, v2
	s_addc_u32 s3, s3, 0
	v_mov_b32_e32 v2, s14
	s_add_u32 s6, s6, 8
	v_mov_b32_e32 v3, s15
	s_addc_u32 s7, s7, 0
	v_cmp_ge_u64_e32 vcc, s[22:23], v[2:3]
	s_add_u32 s20, s20, 8
	v_add3_u32 v45, v5, v45, v4
	s_addc_u32 s21, s21, 0
	s_cbranch_vccnz .LBB0_8
; %bb.7:                                ;   in Loop: Header=BB0_2 Depth=1
	v_mov_b32_e32 v3, v15
	v_mov_b32_e32 v4, v16
	s_branch .LBB0_2
.LBB0_8:
	s_lshl_b64 s[14:15], s[14:15], 3
	s_load_dwordx2 s[0:1], s[4:5], 0x28
	s_add_u32 s2, s18, s14
	s_mov_b32 s3, 0x3c3c3c4
	v_mul_hi_u32 v1, v0, s3
	s_addc_u32 s3, s19, s15
	s_load_dwordx2 s[4:5], s[2:3], 0x0
	s_waitcnt lgkmcnt(0)
	v_cmp_gt_u64_e32 vcc, s[0:1], v[15:16]
	v_mul_u32_u24_e32 v1, 0x44, v1
	v_sub_u32_e32 v17, v0, v1
	v_mov_b32_e32 v1, 0
	v_mov_b32_e32 v14, 0
	;; [unrolled: 1-line block ×3, first 2 shown]
                                        ; implicit-def: $vgpr3
                                        ; implicit-def: $vgpr5
                                        ; implicit-def: $vgpr7
                                        ; implicit-def: $vgpr43
                                        ; implicit-def: $vgpr41
                                        ; implicit-def: $vgpr39
                                        ; implicit-def: $vgpr37
                                        ; implicit-def: $vgpr35
                                        ; implicit-def: $vgpr31
                                        ; implicit-def: $vgpr9
                                        ; implicit-def: $vgpr33
                                        ; implicit-def: $vgpr29
                                        ; implicit-def: $vgpr27
                                        ; implicit-def: $vgpr25
                                        ; implicit-def: $vgpr23
                                        ; implicit-def: $vgpr11
	s_and_saveexec_b64 s[2:3], vcc
	s_cbranch_execz .LBB0_12
; %bb.9:
	v_cmp_gt_u32_e64 s[0:1], 44, v17
	v_mov_b32_e32 v0, 0
	v_mov_b32_e32 v1, 0
                                        ; implicit-def: $vgpr10
                                        ; implicit-def: $vgpr22
                                        ; implicit-def: $vgpr24
                                        ; implicit-def: $vgpr26
                                        ; implicit-def: $vgpr28
                                        ; implicit-def: $vgpr32
                                        ; implicit-def: $vgpr8
                                        ; implicit-def: $vgpr30
                                        ; implicit-def: $vgpr34
                                        ; implicit-def: $vgpr36
                                        ; implicit-def: $vgpr38
                                        ; implicit-def: $vgpr40
                                        ; implicit-def: $vgpr42
                                        ; implicit-def: $vgpr6
                                        ; implicit-def: $vgpr4
                                        ; implicit-def: $vgpr2
	s_and_saveexec_b64 s[6:7], s[0:1]
	s_cbranch_execz .LBB0_11
; %bb.10:
	s_add_u32 s0, s16, s14
	s_addc_u32 s1, s17, s15
	s_load_dwordx2 s[0:1], s[0:1], 0x0
	v_mov_b32_e32 v4, s9
	v_mov_b32_e32 v18, 0
	v_or_b32_e32 v8, 0x2c0, v17
	v_mov_b32_e32 v9, v18
	s_waitcnt lgkmcnt(0)
	v_mul_lo_u32 v2, s1, v15
	v_mul_lo_u32 v3, s0, v16
	v_mad_u64_u32 v[0:1], s[0:1], s0, v15, 0
	v_lshlrev_b64 v[8:9], 3, v[8:9]
	v_add3_u32 v1, v1, v3, v2
	v_lshlrev_b64 v[0:1], 3, v[0:1]
	v_add_co_u32_e64 v2, s[0:1], s8, v0
	v_addc_co_u32_e64 v3, s[0:1], v4, v1, s[0:1]
	v_lshlrev_b64 v[0:1], 3, v[44:45]
	v_add_co_u32_e64 v10, s[0:1], v2, v0
	v_addc_co_u32_e64 v11, s[0:1], v3, v1, s[0:1]
	;; [unrolled: 3-line block ×3, first 2 shown]
	s_movk_i32 s0, 0x1000
	v_add_co_u32_e64 v44, s[0:1], s0, v20
	v_addc_co_u32_e64 v45, s[0:1], 0, v21, s[0:1]
	v_add_co_u32_e64 v46, s[0:1], v10, v8
	global_load_dwordx2 v[0:1], v[20:21], off
	global_load_dwordx2 v[2:3], v[20:21], off offset:352
	global_load_dwordx2 v[4:5], v[20:21], off offset:704
	;; [unrolled: 1-line block ×3, first 2 shown]
	v_addc_co_u32_e64 v47, s[0:1], v11, v9, s[0:1]
	global_load_dwordx2 v[42:43], v[20:21], off offset:1408
	global_load_dwordx2 v[40:41], v[20:21], off offset:1760
	;; [unrolled: 1-line block ×12, first 2 shown]
	global_load_dwordx2 v[32:33], v[46:47], off
.LBB0_11:
	s_or_b64 exec, exec, s[6:7]
	v_mov_b32_e32 v14, v17
.LBB0_12:
	s_or_b64 exec, exec, s[2:3]
	s_mov_b32 s0, 0xaaaaaaab
	v_mul_hi_u32 v18, v19, s0
	s_waitcnt vmcnt(0)
	v_sub_f32_e32 v44, v3, v33
	v_add_f32_e32 v46, v2, v32
	s_mov_b32 s0, 0xbf1a4643
	v_lshrrev_b32_e32 v18, 1, v18
	v_lshl_add_u32 v18, v18, 1, v18
	v_mul_f32_e32 v61, 0xbf4c4adb, v44
	v_sub_f32_e32 v45, v5, v29
	v_sub_u32_e32 v54, v19, v18
	v_fma_f32 v18, v46, s0, -v61
	v_add_f32_e32 v49, v4, v28
	s_mov_b32 s1, 0xbe8c1d8e
	v_mul_f32_e32 v62, 0x3f763a35, v45
	v_add_f32_e32 v18, v0, v18
	v_fma_f32 v19, v49, s1, -v62
	s_mov_b32 s2, 0xbf59a7d5
	v_mul_f32_e32 v66, 0xbf06c442, v44
	v_add_f32_e32 v18, v18, v19
	v_fma_f32 v19, v46, s2, -v66
	s_mov_b32 s3, 0x3ee437d1
	v_mul_f32_e32 v67, 0x3f65296c, v45
	v_sub_f32_e32 v47, v7, v27
	v_add_f32_e32 v19, v0, v19
	v_fma_f32 v20, v49, s3, -v67
	s_mov_b32 s6, 0x3f6eb680
	v_add_f32_e32 v51, v6, v26
	v_mul_f32_e32 v63, 0xbeb8f4ab, v47
	v_add_f32_e32 v19, v19, v20
	v_fma_f32 v20, v51, s6, -v63
	s_mov_b32 s7, 0x3dbcf732
	v_mul_f32_e32 v68, 0xbf7ee86f, v47
	v_sub_f32_e32 v48, v43, v25
	v_add_f32_e32 v18, v18, v20
	v_fma_f32 v20, v51, s7, -v68
	v_add_f32_e32 v53, v42, v24
	v_mul_f32_e32 v64, 0xbf06c442, v48
	v_add_f32_e32 v19, v19, v20
	v_fma_f32 v20, v53, s2, -v64
	v_mul_f32_e32 v70, 0x3f4c4adb, v48
	v_sub_f32_e32 v50, v41, v23
	v_add_f32_e32 v18, v18, v20
	v_fma_f32 v20, v53, s0, -v70
	v_add_f32_e32 v56, v40, v22
	v_mul_f32_e32 v65, 0x3f7ee86f, v50
	v_add_f32_e32 v19, v19, v20
	v_fma_f32 v20, v56, s7, -v65
	v_mul_f32_e32 v72, 0xbeb8f4ab, v50
	v_sub_f32_e32 v52, v39, v11
	v_add_f32_e32 v18, v18, v20
	v_fma_f32 v20, v56, s6, -v72
	s_mov_b32 s8, 0x3f3d2fb0
	v_add_f32_e32 v58, v38, v10
	v_mul_f32_e32 v69, 0xbf2c7751, v52
	v_add_f32_e32 v19, v19, v20
	v_fma_f32 v20, v58, s8, -v69
	s_mov_b32 s9, 0xbf7ba420
	v_mul_f32_e32 v74, 0xbe3c28d5, v52
	v_sub_f32_e32 v55, v37, v9
	v_add_f32_e32 v18, v18, v20
	v_fma_f32 v20, v58, s9, -v74
	v_add_f32_e32 v59, v36, v8
	v_mul_f32_e32 v71, 0xbe3c28d5, v55
	v_add_f32_e32 v19, v19, v20
	v_fma_f32 v20, v59, s9, -v71
	v_mul_f32_e32 v75, 0x3f2c7751, v55
	v_sub_f32_e32 v57, v35, v31
	v_add_f32_e32 v18, v20, v18
	v_fma_f32 v20, v59, s8, -v75
	v_add_f32_e32 v60, v34, v30
	v_mul_f32_e32 v73, 0x3f65296c, v57
	v_add_f32_e32 v20, v20, v19
	v_fma_f32 v19, v60, s3, -v73
	v_mul_f32_e32 v76, 0xbf763a35, v57
	v_add_f32_e32 v19, v19, v18
	v_fma_f32 v18, v60, s1, -v76
	v_add_f32_e32 v18, v18, v20
	v_mul_f32_e32 v20, 0xbe3c28d5, v44
	v_mov_b32_e32 v21, v20
	v_mul_f32_e32 v77, 0x3eb8f4ab, v45
	v_fma_f32 v20, v46, s9, -v20
	v_fmac_f32_e32 v21, 0xbf7ba420, v46
	v_mov_b32_e32 v78, v77
	v_add_f32_e32 v20, v0, v20
	v_fma_f32 v77, v49, s6, -v77
	v_add_f32_e32 v21, v0, v21
	v_fmac_f32_e32 v78, 0x3f6eb680, v49
	v_add_f32_e32 v20, v20, v77
	v_mul_f32_e32 v77, 0xbf06c442, v47
	v_add_f32_e32 v21, v21, v78
	v_mov_b32_e32 v78, v77
	v_fma_f32 v77, v51, s2, -v77
	v_fmac_f32_e32 v78, 0xbf59a7d5, v51
	v_add_f32_e32 v20, v20, v77
	v_mul_f32_e32 v77, 0x3f2c7751, v48
	v_add_f32_e32 v21, v21, v78
	v_mov_b32_e32 v78, v77
	v_fma_f32 v77, v53, s8, -v77
	;; [unrolled: 6-line block ×4, first 2 shown]
	v_fmac_f32_e32 v78, 0x3ee437d1, v58
	v_add_f32_e32 v20, v20, v77
	v_mul_f32_e32 v77, 0xbf763a35, v55
	v_add_f32_e32 v21, v21, v78
	v_mov_b32_e32 v78, v77
	v_fmac_f32_e32 v78, 0xbe8c1d8e, v59
	v_add_f32_e32 v21, v78, v21
	v_fma_f32 v77, v59, s1, -v77
	v_mul_f32_e32 v78, 0x3f7ee86f, v57
	v_add_f32_e32 v77, v77, v20
	v_mov_b32_e32 v20, v78
	v_fmac_f32_e32 v20, 0x3dbcf732, v60
	v_add_f32_e32 v20, v20, v21
	v_fma_f32 v21, v60, s7, -v78
	v_mul_u32_u24_e32 v54, 0x2ec, v54
	v_add_f32_e32 v21, v21, v77
	v_cmp_gt_u32_e64 s[2:3], 44, v17
	v_lshlrev_b32_e32 v54, 2, v54
	s_and_saveexec_b64 s[0:1], s[2:3]
	s_cbranch_execz .LBB0_14
; %bb.13:
	v_mul_f32_e32 v77, 0xbf59a7d5, v46
	v_add_f32_e32 v66, v66, v77
	v_mul_f32_e32 v77, 0x3ee437d1, v49
	v_add_f32_e32 v67, v67, v77
	v_add_f32_e32 v66, v0, v66
	;; [unrolled: 1-line block ×3, first 2 shown]
	v_mul_f32_e32 v67, 0x3dbcf732, v51
	v_add_f32_e32 v67, v68, v67
	v_add_f32_e32 v66, v66, v67
	v_mul_f32_e32 v67, 0xbf1a4643, v53
	v_add_f32_e32 v67, v70, v67
	v_add_f32_e32 v66, v66, v67
	v_mul_f32_e32 v67, 0x3f6eb680, v56
	v_add_f32_e32 v67, v72, v67
	v_mul_f32_e32 v68, 0xbf1a4643, v46
	;; [unrolled: 2-line block ×3, first 2 shown]
	v_mul_f32_e32 v70, 0xbe8c1d8e, v49
	v_add_f32_e32 v67, v74, v67
	v_add_f32_e32 v61, v61, v68
	v_mul_f32_e32 v72, 0x3f6eb680, v51
	v_add_f32_e32 v66, v66, v67
	v_mul_f32_e32 v67, 0x3f3d2fb0, v59
	v_add_f32_e32 v61, v0, v61
	v_add_f32_e32 v62, v62, v70
	v_mul_f32_e32 v74, 0xbf59a7d5, v53
	v_add_f32_e32 v67, v75, v67
	v_add_f32_e32 v61, v61, v62
	;; [unrolled: 1-line block ×3, first 2 shown]
	v_mul_f32_e32 v75, 0x3dbcf732, v56
	v_add_f32_e32 v66, v67, v66
	v_mul_f32_e32 v67, 0xbe8c1d8e, v60
	v_add_f32_e32 v61, v61, v62
	v_add_f32_e32 v62, v64, v74
	v_add_f32_e32 v67, v76, v67
	v_mul_f32_e32 v76, 0x3f3d2fb0, v58
	v_add_f32_e32 v61, v61, v62
	v_add_f32_e32 v62, v65, v75
	;; [unrolled: 4-line block ×3, first 2 shown]
	v_mul_f32_e32 v68, 0x3ee437d1, v60
	v_add_f32_e32 v61, v61, v62
	v_add_f32_e32 v62, v71, v67
	;; [unrolled: 1-line block ×5, first 2 shown]
	v_mul_f32_e32 v62, 0xbe8c1d8e, v46
	v_mov_b32_e32 v63, v62
	v_mul_f32_e32 v64, 0xbf59a7d5, v49
	v_fmac_f32_e32 v63, 0x3f763a35, v44
	v_mov_b32_e32 v65, v64
	v_add_f32_e32 v63, v0, v63
	v_fmac_f32_e32 v65, 0xbf06c442, v45
	v_add_f32_e32 v63, v63, v65
	v_mul_f32_e32 v65, 0x3f3d2fb0, v51
	v_mov_b32_e32 v67, v65
	v_fmac_f32_e32 v67, 0xbf2c7751, v47
	v_add_f32_e32 v63, v63, v67
	v_mul_f32_e32 v67, 0x3ee437d1, v53
	v_fmac_f32_e32 v62, 0xbf763a35, v44
	v_mov_b32_e32 v68, v67
	v_add_f32_e32 v62, v0, v62
	v_fmac_f32_e32 v64, 0x3f06c442, v45
	v_fmac_f32_e32 v68, 0x3f65296c, v48
	v_add_f32_e32 v62, v62, v64
	v_fmac_f32_e32 v65, 0x3f2c7751, v47
	v_add_f32_e32 v63, v63, v68
	v_mul_f32_e32 v68, 0xbf7ba420, v56
	v_add_f32_e32 v62, v62, v65
	v_fmac_f32_e32 v67, 0xbf65296c, v48
	v_mul_f32_e32 v64, 0x3dbcf732, v46
	v_mov_b32_e32 v69, v68
	v_add_f32_e32 v62, v62, v67
	v_fmac_f32_e32 v68, 0xbe3c28d5, v50
	v_mov_b32_e32 v65, v64
	v_mul_f32_e32 v67, 0xbf7ba420, v49
	v_fmac_f32_e32 v69, 0x3e3c28d5, v50
	v_add_f32_e32 v62, v62, v68
	v_fmac_f32_e32 v65, 0x3f7ee86f, v44
	v_mov_b32_e32 v68, v67
	v_add_f32_e32 v63, v63, v69
	v_mul_f32_e32 v69, 0x3dbcf732, v58
	v_add_f32_e32 v65, v0, v65
	v_fmac_f32_e32 v68, 0x3e3c28d5, v45
	v_mov_b32_e32 v70, v69
	v_fmac_f32_e32 v69, 0x3f7ee86f, v52
	v_add_f32_e32 v65, v65, v68
	v_mul_f32_e32 v68, 0xbe8c1d8e, v51
	v_fmac_f32_e32 v70, 0xbf7ee86f, v52
	v_add_f32_e32 v62, v62, v69
	v_mov_b32_e32 v69, v68
	v_add_f32_e32 v63, v63, v70
	v_mul_f32_e32 v70, 0x3f6eb680, v59
	v_fmac_f32_e32 v69, 0xbf763a35, v47
	v_mov_b32_e32 v71, v70
	v_fmac_f32_e32 v70, 0xbeb8f4ab, v55
	v_add_f32_e32 v65, v65, v69
	v_mul_f32_e32 v69, 0x3f6eb680, v53
	v_fmac_f32_e32 v64, 0xbf7ee86f, v44
	v_fmac_f32_e32 v71, 0x3eb8f4ab, v55
	v_add_f32_e32 v62, v70, v62
	v_mov_b32_e32 v70, v69
	v_add_f32_e32 v64, v0, v64
	v_fmac_f32_e32 v67, 0xbe3c28d5, v45
	v_add_f32_e32 v63, v71, v63
	v_mul_f32_e32 v71, 0xbf1a4643, v60
	v_fmac_f32_e32 v70, 0xbeb8f4ab, v48
	v_add_f32_e32 v64, v64, v67
	v_fmac_f32_e32 v68, 0x3f763a35, v47
	v_mov_b32_e32 v72, v71
	v_fmac_f32_e32 v71, 0xbf4c4adb, v57
	v_add_f32_e32 v65, v65, v70
	v_mul_f32_e32 v70, 0x3ee437d1, v56
	v_add_f32_e32 v64, v64, v68
	v_fmac_f32_e32 v69, 0x3eb8f4ab, v48
	v_mul_f32_e32 v67, 0x3ee437d1, v46
	v_add_f32_e32 v62, v71, v62
	v_mov_b32_e32 v71, v70
	v_add_f32_e32 v64, v64, v69
	v_fmac_f32_e32 v70, 0xbf65296c, v50
	v_mov_b32_e32 v68, v67
	v_mul_f32_e32 v69, 0xbf1a4643, v49
	v_fmac_f32_e32 v71, 0x3f65296c, v50
	v_add_f32_e32 v64, v64, v70
	v_fmac_f32_e32 v68, 0x3f65296c, v44
	v_mov_b32_e32 v70, v69
	v_fmac_f32_e32 v72, 0x3f4c4adb, v57
	v_add_f32_e32 v65, v65, v71
	v_mul_f32_e32 v71, 0xbf59a7d5, v58
	v_add_f32_e32 v68, v0, v68
	v_fmac_f32_e32 v70, 0x3f4c4adb, v45
	v_add_f32_e32 v63, v72, v63
	v_mov_b32_e32 v72, v71
	v_fmac_f32_e32 v71, 0xbf06c442, v52
	v_add_f32_e32 v68, v68, v70
	v_mul_f32_e32 v70, 0xbf7ba420, v51
	v_fmac_f32_e32 v72, 0x3f06c442, v52
	v_add_f32_e32 v64, v64, v71
	v_mov_b32_e32 v71, v70
	v_add_f32_e32 v65, v65, v72
	v_mul_f32_e32 v72, 0xbf1a4643, v59
	v_fmac_f32_e32 v71, 0xbe3c28d5, v47
	v_mov_b32_e32 v73, v72
	v_fmac_f32_e32 v72, 0x3f4c4adb, v55
	v_add_f32_e32 v68, v68, v71
	v_mul_f32_e32 v71, 0xbe8c1d8e, v53
	v_fmac_f32_e32 v67, 0xbf65296c, v44
	v_fmac_f32_e32 v73, 0xbf4c4adb, v55
	v_add_f32_e32 v64, v72, v64
	v_mov_b32_e32 v72, v71
	v_add_f32_e32 v67, v0, v67
	v_fmac_f32_e32 v69, 0xbf4c4adb, v45
	v_add_f32_e32 v65, v73, v65
	v_mul_f32_e32 v73, 0x3f3d2fb0, v60
	v_fmac_f32_e32 v72, 0xbf763a35, v48
	v_add_f32_e32 v67, v67, v69
	v_fmac_f32_e32 v70, 0x3e3c28d5, v47
	v_mov_b32_e32 v74, v73
	v_fmac_f32_e32 v73, 0x3f2c7751, v57
	v_add_f32_e32 v68, v68, v72
	v_mul_f32_e32 v72, 0x3f3d2fb0, v56
	v_add_f32_e32 v67, v67, v70
	v_fmac_f32_e32 v71, 0x3f763a35, v48
	v_mul_f32_e32 v69, 0x3f3d2fb0, v46
	v_add_f32_e32 v64, v73, v64
	v_mov_b32_e32 v73, v72
	v_add_f32_e32 v67, v67, v71
	v_fmac_f32_e32 v72, 0x3f2c7751, v50
	v_mov_b32_e32 v70, v69
	v_mul_f32_e32 v71, 0x3dbcf732, v49
	v_fmac_f32_e32 v73, 0xbf2c7751, v50
	v_add_f32_e32 v67, v67, v72
	v_fmac_f32_e32 v70, 0x3f2c7751, v44
	v_mov_b32_e32 v72, v71
	v_fmac_f32_e32 v69, 0xbf2c7751, v44
	v_fmac_f32_e32 v74, 0xbf2c7751, v57
	v_add_f32_e32 v68, v68, v73
	v_mul_f32_e32 v73, 0x3f6eb680, v58
	v_add_f32_e32 v70, v0, v70
	v_fmac_f32_e32 v72, 0x3f7ee86f, v45
	v_add_f32_e32 v69, v0, v69
	v_fmac_f32_e32 v71, 0xbf7ee86f, v45
	v_mul_f32_e32 v46, 0x3f6eb680, v46
	v_add_f32_e32 v65, v74, v65
	v_mov_b32_e32 v74, v73
	v_fmac_f32_e32 v73, 0xbeb8f4ab, v52
	v_add_f32_e32 v70, v70, v72
	v_mul_f32_e32 v72, 0xbf1a4643, v51
	v_add_f32_e32 v69, v69, v71
	v_mov_b32_e32 v71, v46
	v_fmac_f32_e32 v74, 0x3eb8f4ab, v52
	v_add_f32_e32 v67, v67, v73
	v_mov_b32_e32 v73, v72
	v_fmac_f32_e32 v71, 0x3eb8f4ab, v44
	v_fmac_f32_e32 v46, 0xbeb8f4ab, v44
	v_add_f32_e32 v68, v68, v74
	v_mul_f32_e32 v74, 0x3dbcf732, v59
	v_fmac_f32_e32 v73, 0x3f4c4adb, v47
	v_add_f32_e32 v71, v0, v71
	v_add_f32_e32 v44, v0, v46
	;; [unrolled: 1-line block ×3, first 2 shown]
	v_mov_b32_e32 v75, v74
	v_fmac_f32_e32 v74, 0xbf7ee86f, v55
	v_add_f32_e32 v70, v70, v73
	v_mul_f32_e32 v73, 0xbf7ba420, v53
	v_fmac_f32_e32 v72, 0xbf4c4adb, v47
	v_mul_f32_e32 v49, 0x3f3d2fb0, v49
	v_add_f32_e32 v0, v0, v4
	v_fmac_f32_e32 v75, 0x3f7ee86f, v55
	v_add_f32_e32 v67, v74, v67
	v_mov_b32_e32 v74, v73
	v_add_f32_e32 v69, v69, v72
	v_mov_b32_e32 v72, v49
	v_add_f32_e32 v0, v0, v6
	v_add_f32_e32 v68, v75, v68
	v_mul_f32_e32 v75, 0xbf59a7d5, v60
	v_fmac_f32_e32 v74, 0x3e3c28d5, v48
	v_fmac_f32_e32 v72, 0x3f2c7751, v45
	v_mul_f32_e32 v51, 0x3ee437d1, v51
	v_add_f32_e32 v0, v0, v42
	v_mov_b32_e32 v76, v75
	v_fmac_f32_e32 v75, 0xbf06c442, v57
	v_add_f32_e32 v70, v70, v74
	v_mul_f32_e32 v74, 0xbf59a7d5, v56
	v_add_f32_e32 v71, v71, v72
	v_mov_b32_e32 v72, v51
	v_add_f32_e32 v0, v0, v40
	v_add_f32_e32 v67, v75, v67
	v_mov_b32_e32 v75, v74
	v_fmac_f32_e32 v72, 0x3f65296c, v47
	v_mul_f32_e32 v53, 0x3dbcf732, v53
	v_add_f32_e32 v0, v0, v38
	v_fmac_f32_e32 v75, 0xbf06c442, v50
	v_add_f32_e32 v71, v71, v72
	v_mov_b32_e32 v72, v53
	v_add_f32_e32 v0, v0, v36
	v_fmac_f32_e32 v76, 0x3f06c442, v57
	v_add_f32_e32 v70, v70, v75
	v_mul_f32_e32 v75, 0xbe8c1d8e, v58
	v_fmac_f32_e32 v72, 0x3f7ee86f, v48
	v_mul_f32_e32 v56, 0xbe8c1d8e, v56
	v_add_f32_e32 v0, v0, v34
	v_add_f32_e32 v68, v76, v68
	v_mov_b32_e32 v76, v75
	v_add_f32_e32 v71, v71, v72
	v_mov_b32_e32 v72, v56
	v_fmac_f32_e32 v49, 0xbf2c7751, v45
	v_add_f32_e32 v0, v0, v30
	v_fmac_f32_e32 v76, 0xbf763a35, v52
	v_fmac_f32_e32 v72, 0x3f763a35, v50
	v_mul_f32_e32 v58, 0xbf1a4643, v58
	v_add_f32_e32 v44, v44, v49
	v_fmac_f32_e32 v51, 0xbf65296c, v47
	v_add_f32_e32 v0, v0, v8
	v_add_f32_e32 v70, v70, v76
	v_mul_f32_e32 v76, 0x3ee437d1, v59
	v_add_f32_e32 v71, v71, v72
	v_mov_b32_e32 v72, v58
	v_add_f32_e32 v44, v44, v51
	v_fmac_f32_e32 v53, 0xbf7ee86f, v48
	v_add_f32_e32 v0, v0, v10
	v_mov_b32_e32 v77, v76
	v_fmac_f32_e32 v73, 0xbe3c28d5, v48
	v_fmac_f32_e32 v72, 0x3f4c4adb, v52
	v_mul_f32_e32 v59, 0xbf59a7d5, v59
	v_add_f32_e32 v44, v44, v53
	v_fmac_f32_e32 v56, 0xbf763a35, v50
	v_add_f32_e32 v0, v22, v0
	v_fmac_f32_e32 v77, 0xbf65296c, v55
	;; [unrolled: 2-line block ×3, first 2 shown]
	v_add_f32_e32 v71, v71, v72
	v_mov_b32_e32 v72, v59
	v_add_f32_e32 v44, v44, v56
	v_fmac_f32_e32 v58, 0xbf4c4adb, v52
	v_add_f32_e32 v0, v24, v0
	v_add_f32_e32 v70, v77, v70
	v_mul_f32_e32 v77, 0x3f6eb680, v60
	v_add_f32_e32 v69, v69, v74
	v_fmac_f32_e32 v75, 0x3f763a35, v52
	v_fmac_f32_e32 v72, 0x3f06c442, v55
	v_mul_f32_e32 v60, 0xbf7ba420, v60
	v_add_f32_e32 v44, v44, v58
	v_fmac_f32_e32 v59, 0xbf06c442, v55
	v_add_f32_e32 v0, v26, v0
	v_mov_b32_e32 v78, v77
	v_add_f32_e32 v69, v69, v75
	v_fmac_f32_e32 v76, 0x3f65296c, v55
	v_add_f32_e32 v71, v72, v71
	v_mov_b32_e32 v72, v60
	v_add_f32_e32 v44, v59, v44
	v_fmac_f32_e32 v60, 0xbe3c28d5, v57
	v_add_f32_e32 v0, v28, v0
	v_mul_u32_u24_e32 v45, 0x44, v17
	v_fmac_f32_e32 v78, 0xbeb8f4ab, v57
	v_add_f32_e32 v69, v76, v69
	v_fmac_f32_e32 v77, 0x3eb8f4ab, v57
	v_fmac_f32_e32 v72, 0x3e3c28d5, v57
	v_add_f32_e32 v44, v60, v44
	v_add_f32_e32 v0, v32, v0
	v_add3_u32 v45, 0, v45, v54
	v_add_f32_e32 v70, v78, v70
	v_add_f32_e32 v69, v77, v69
	;; [unrolled: 1-line block ×3, first 2 shown]
	ds_write2_b32 v45, v0, v44 offset1:1
	ds_write2_b32 v45, v69, v67 offset0:2 offset1:3
	ds_write2_b32 v45, v64, v62 offset0:4 offset1:5
	;; [unrolled: 1-line block ×7, first 2 shown]
	ds_write_b32 v45, v71 offset:64
.LBB0_14:
	s_or_b64 exec, exec, s[0:1]
	v_lshlrev_b32_e32 v0, 2, v17
	v_add3_u32 v56, 0, v54, v0
	v_add_u32_e32 v0, 0, v0
	v_add_u32_e32 v55, v0, v54
	;; [unrolled: 1-line block ×4, first 2 shown]
	s_waitcnt lgkmcnt(0)
	s_barrier
	ds_read2_b32 v[48:49], v55 offset0:68 offset1:187
	ds_read2_b32 v[44:45], v50 offset0:127 offset1:246
	;; [unrolled: 1-line block ×3, first 2 shown]
	ds_read_b32 v57, v56
	ds_read_b32 v58, v55 offset:2516
	v_cmp_gt_u32_e64 s[0:1], 51, v17
	s_and_saveexec_b64 s[6:7], s[0:1]
	s_cbranch_execz .LBB0_16
; %bb.15:
	v_add_u32_e32 v18, 0x700, v55
	ds_read2_b32 v[20:21], v50 offset0:8 offset1:195
	ds_read2_b32 v[18:19], v18 offset0:62 offset1:249
.LBB0_16:
	s_or_b64 exec, exec, s[6:7]
	v_sub_f32_e32 v77, v2, v32
	v_mul_f32_e32 v75, 0xbf4c4adb, v77
	v_sub_f32_e32 v73, v4, v28
	v_add_f32_e32 v74, v3, v33
	v_mov_b32_e32 v2, v75
	v_mul_f32_e32 v71, 0x3f763a35, v73
	v_sub_f32_e32 v69, v6, v26
	v_fmac_f32_e32 v2, 0xbf1a4643, v74
	v_mul_f32_e32 v76, 0xbf06c442, v77
	v_add_f32_e32 v70, v5, v29
	v_mov_b32_e32 v4, v71
	v_mul_f32_e32 v67, 0xbeb8f4ab, v69
	v_sub_f32_e32 v65, v42, v24
	v_add_f32_e32 v2, v1, v2
	v_mov_b32_e32 v32, v76
	v_fmac_f32_e32 v4, 0xbe8c1d8e, v70
	v_mul_f32_e32 v72, 0x3f65296c, v73
	v_add_f32_e32 v66, v7, v27
	v_mov_b32_e32 v6, v67
	v_mul_f32_e32 v63, 0xbf06c442, v65
	v_fmac_f32_e32 v32, 0xbf59a7d5, v74
	v_add_f32_e32 v2, v2, v4
	v_mov_b32_e32 v4, v72
	v_fmac_f32_e32 v6, 0x3f6eb680, v66
	v_mul_f32_e32 v68, 0xbf7ee86f, v69
	v_add_f32_e32 v62, v43, v25
	v_mov_b32_e32 v24, v63
	v_add_f32_e32 v32, v1, v32
	v_mul_f32_e32 v50, 0xbe3c28d5, v77
	s_mov_b32 s14, 0xbf7ba420
	v_fmac_f32_e32 v4, 0x3ee437d1, v70
	v_add_f32_e32 v2, v2, v6
	v_mov_b32_e32 v6, v68
	v_fmac_f32_e32 v24, 0xbf59a7d5, v62
	v_mul_f32_e32 v64, 0x3f4c4adb, v65
	v_fma_f32 v51, v74, s14, -v50
	v_fmac_f32_e32 v50, 0xbf7ba420, v74
	v_add_f32_e32 v4, v32, v4
	v_mul_f32_e32 v28, 0x3eb8f4ab, v73
	s_mov_b32 s15, 0x3f6eb680
	v_fmac_f32_e32 v6, 0x3dbcf732, v66
	v_add_f32_e32 v2, v2, v24
	v_mov_b32_e32 v24, v64
	s_mov_b32 s9, 0xbf59a7d5
	v_add_f32_e32 v51, v1, v51
	v_add_f32_e32 v50, v1, v50
	v_fma_f32 v32, v70, s15, -v28
	v_fmac_f32_e32 v28, 0x3f6eb680, v70
	v_add_f32_e32 v4, v4, v6
	v_mul_f32_e32 v6, 0xbf06c442, v69
	v_fmac_f32_e32 v24, 0xbf1a4643, v62
	v_sub_f32_e32 v61, v40, v22
	v_add_f32_e32 v32, v51, v32
	v_add_f32_e32 v28, v50, v28
	v_fma_f32 v26, v66, s9, -v6
	v_fmac_f32_e32 v6, 0xbf59a7d5, v66
	v_add_f32_e32 v4, v4, v24
	v_mul_f32_e32 v24, 0x3f2c7751, v65
	s_mov_b32 s16, 0x3f3d2fb0
	v_mul_f32_e32 v59, 0x3f7ee86f, v61
	v_sub_f32_e32 v40, v38, v10
	v_add_f32_e32 v26, v32, v26
	v_add_f32_e32 v6, v28, v6
	v_fma_f32 v28, v62, s16, -v24
	v_add_f32_e32 v42, v41, v23
	v_mov_b32_e32 v22, v59
	v_mul_f32_e32 v32, 0xbf2c7751, v40
	v_add_f32_e32 v26, v26, v28
	v_fmac_f32_e32 v22, 0x3dbcf732, v42
	v_mul_f32_e32 v60, 0xbeb8f4ab, v61
	v_add_f32_e32 v28, v39, v11
	v_mov_b32_e32 v10, v32
	v_add_f32_e32 v2, v2, v22
	v_mov_b32_e32 v22, v60
	v_fmac_f32_e32 v10, 0x3f3d2fb0, v28
	v_mul_f32_e32 v38, 0xbe3c28d5, v40
	v_fmac_f32_e32 v22, 0x3f6eb680, v42
	v_add_f32_e32 v2, v2, v10
	v_mov_b32_e32 v10, v38
	s_mov_b32 s8, 0xbf1a4643
	v_fmac_f32_e32 v24, 0x3f3d2fb0, v62
	v_add_f32_e32 v4, v4, v22
	v_mul_f32_e32 v22, 0xbf4c4adb, v61
	v_fmac_f32_e32 v10, 0xbf7ba420, v28
	s_mov_b32 s17, 0x3ee437d1
	v_add_f32_e32 v6, v6, v24
	v_fma_f32 v24, v42, s8, -v22
	v_fmac_f32_e32 v22, 0xbf1a4643, v42
	v_add_f32_e32 v4, v4, v10
	v_mul_f32_e32 v10, 0x3f65296c, v40
	v_add_f32_e32 v24, v26, v24
	v_add_f32_e32 v6, v6, v22
	v_fma_f32 v22, v28, s17, -v10
	v_sub_f32_e32 v26, v36, v8
	v_add_f32_e32 v50, v24, v22
	v_fmac_f32_e32 v10, 0x3ee437d1, v28
	v_mul_f32_e32 v22, 0xbe3c28d5, v26
	v_add_f32_e32 v6, v6, v10
	v_add_f32_e32 v10, v37, v9
	v_mov_b32_e32 v8, v22
	v_fmac_f32_e32 v8, 0xbf7ba420, v10
	v_mul_f32_e32 v24, 0x3f2c7751, v26
	v_add_f32_e32 v36, v8, v2
	v_mov_b32_e32 v2, v24
	v_fmac_f32_e32 v2, 0x3f3d2fb0, v10
	s_mov_b32 s19, 0xbe8c1d8e
	v_add_f32_e32 v52, v2, v4
	v_mul_f32_e32 v2, 0xbf763a35, v26
	v_fma_f32 v4, v10, s19, -v2
	v_sub_f32_e32 v8, v34, v30
	v_add_f32_e32 v53, v4, v50
	v_fmac_f32_e32 v2, 0xbe8c1d8e, v10
	v_mul_f32_e32 v4, 0x3f65296c, v8
	v_add_f32_e32 v78, v2, v6
	v_add_f32_e32 v2, v35, v31
	v_mov_b32_e32 v6, v4
	v_fmac_f32_e32 v6, 0x3ee437d1, v2
	v_add_f32_e32 v51, v6, v36
	v_mul_f32_e32 v6, 0xbf763a35, v8
	v_mov_b32_e32 v30, v6
	v_fmac_f32_e32 v30, 0xbe8c1d8e, v2
	s_mov_b32 s18, 0x3dbcf732
	v_add_f32_e32 v50, v30, v52
	v_mul_f32_e32 v30, 0x3f7ee86f, v8
	v_fma_f32 v34, v2, s18, -v30
	v_fmac_f32_e32 v30, 0x3dbcf732, v2
	v_add_f32_e32 v52, v34, v53
	v_add_f32_e32 v53, v30, v78
	s_waitcnt lgkmcnt(0)
	s_barrier
	s_and_saveexec_b64 s[6:7], s[2:3]
	s_cbranch_execz .LBB0_18
; %bb.17:
	v_add_f32_e32 v3, v1, v3
	v_add_f32_e32 v3, v3, v5
	;; [unrolled: 1-line block ×14, first 2 shown]
	v_mul_f32_e32 v5, 0xbf1a4643, v74
	v_add_f32_e32 v3, v29, v3
	v_mul_f32_e32 v30, 0xbf59a7d5, v74
	v_mul_f32_e32 v7, 0xbe8c1d8e, v70
	v_add_f32_e32 v3, v33, v3
	v_mul_f32_e32 v9, 0xbeb8f4ab, v77
	v_mul_f32_e32 v23, 0xbf2c7751, v77
	v_mul_f32_e32 v27, 0xbf65296c, v77
	v_mul_f32_e32 v33, 0xbf7ee86f, v77
	v_mul_f32_e32 v77, 0xbf763a35, v77
	v_sub_f32_e32 v5, v5, v75
	v_mul_f32_e32 v34, 0x3ee437d1, v70
	v_fma_f32 v11, v74, s15, -v9
	v_fmac_f32_e32 v9, 0x3f6eb680, v74
	v_fma_f32 v25, v74, s16, -v23
	v_fmac_f32_e32 v23, 0x3f3d2fb0, v74
	;; [unrolled: 2-line block ×5, first 2 shown]
	v_add_f32_e32 v5, v1, v5
	v_sub_f32_e32 v30, v30, v76
	v_sub_f32_e32 v7, v7, v71
	v_add_f32_e32 v11, v1, v11
	v_add_f32_e32 v9, v1, v9
	;; [unrolled: 1-line block ×11, first 2 shown]
	v_mul_f32_e32 v30, 0xbf2c7751, v73
	v_add_f32_e32 v5, v5, v7
	v_sub_f32_e32 v7, v34, v72
	v_fma_f32 v75, v70, s16, -v30
	v_fmac_f32_e32 v30, 0x3f3d2fb0, v70
	v_add_f32_e32 v1, v1, v7
	v_mul_f32_e32 v7, 0xbf65296c, v69
	v_add_f32_e32 v9, v9, v30
	v_mul_f32_e32 v30, 0xbf7ee86f, v73
	v_fma_f32 v34, v66, s17, -v7
	v_fmac_f32_e32 v7, 0x3ee437d1, v66
	v_add_f32_e32 v11, v11, v75
	v_fma_f32 v75, v70, s18, -v30
	v_fmac_f32_e32 v30, 0x3dbcf732, v70
	v_add_f32_e32 v7, v9, v7
	v_mul_f32_e32 v9, 0xbf4c4adb, v69
	v_add_f32_e32 v23, v23, v30
	v_mul_f32_e32 v30, 0xbf4c4adb, v73
	v_add_f32_e32 v11, v11, v34
	v_fma_f32 v34, v66, s8, -v9
	v_fmac_f32_e32 v9, 0xbf1a4643, v66
	v_add_f32_e32 v25, v25, v75
	v_fma_f32 v75, v70, s8, -v30
	v_fmac_f32_e32 v30, 0xbf1a4643, v70
	v_add_f32_e32 v9, v23, v9
	v_mul_f32_e32 v23, 0x3e3c28d5, v69
	v_add_f32_e32 v27, v27, v30
	v_mul_f32_e32 v30, 0xbe3c28d5, v73
	v_add_f32_e32 v25, v25, v34
	;; [unrolled: 10-line block ×3, first 2 shown]
	v_fma_f32 v34, v66, s19, -v27
	v_fmac_f32_e32 v27, 0xbe8c1d8e, v66
	v_fma_f32 v73, v70, s9, -v33
	v_fmac_f32_e32 v33, 0xbf59a7d5, v70
	v_add_f32_e32 v27, v30, v27
	v_mul_f32_e32 v30, 0x3f2c7751, v69
	v_mul_f32_e32 v36, 0x3f6eb680, v66
	v_add_f32_e32 v33, v74, v33
	v_fma_f32 v69, v66, s16, -v30
	v_fmac_f32_e32 v30, 0x3f3d2fb0, v66
	v_mul_f32_e32 v43, 0x3dbcf732, v66
	v_add_f32_e32 v30, v33, v30
	v_sub_f32_e32 v33, v36, v67
	v_add_f32_e32 v5, v5, v33
	v_sub_f32_e32 v33, v43, v68
	v_add_f32_e32 v1, v1, v33
	v_mul_f32_e32 v33, 0xbf7ee86f, v65
	v_fma_f32 v36, v62, s18, -v33
	v_fmac_f32_e32 v33, 0x3dbcf732, v62
	v_add_f32_e32 v7, v7, v33
	v_mul_f32_e32 v33, 0xbe3c28d5, v65
	v_add_f32_e32 v11, v11, v36
	v_fma_f32 v36, v62, s14, -v33
	v_fmac_f32_e32 v33, 0xbf7ba420, v62
	v_add_f32_e32 v9, v9, v33
	v_mul_f32_e32 v33, 0x3f763a35, v65
	v_add_f32_e32 v25, v25, v36
	;; [unrolled: 5-line block ×3, first 2 shown]
	v_add_f32_e32 v29, v29, v36
	v_fma_f32 v36, v62, s15, -v33
	v_fmac_f32_e32 v33, 0x3f6eb680, v62
	v_add_f32_e32 v34, v75, v34
	v_add_f32_e32 v27, v27, v33
	v_mul_f32_e32 v33, 0xbf65296c, v65
	v_mul_f32_e32 v41, 0xbf59a7d5, v62
	v_add_f32_e32 v34, v34, v36
	v_fma_f32 v36, v62, s17, -v33
	v_fmac_f32_e32 v33, 0x3ee437d1, v62
	v_mul_f32_e32 v78, 0xbf1a4643, v62
	v_add_f32_e32 v30, v30, v33
	v_sub_f32_e32 v33, v41, v63
	v_add_f32_e32 v5, v5, v33
	v_sub_f32_e32 v33, v78, v64
	v_add_f32_e32 v1, v1, v33
	v_mul_f32_e32 v33, 0xbf763a35, v61
	v_fma_f32 v41, v42, s19, -v33
	v_fmac_f32_e32 v33, 0xbe8c1d8e, v42
	v_add_f32_e32 v7, v7, v33
	v_mul_f32_e32 v33, 0x3f06c442, v61
	v_add_f32_e32 v11, v11, v41
	v_fma_f32 v41, v42, s9, -v33
	v_fmac_f32_e32 v33, 0xbf59a7d5, v42
	v_add_f32_e32 v9, v9, v33
	v_mul_f32_e32 v33, 0x3f2c7751, v61
	v_add_f32_e32 v25, v25, v41
	;; [unrolled: 5-line block ×3, first 2 shown]
	v_fma_f32 v41, v42, s17, -v33
	v_fmac_f32_e32 v33, 0x3ee437d1, v42
	v_add_f32_e32 v27, v27, v33
	v_mul_f32_e32 v33, 0xbe3c28d5, v61
	v_mul_f32_e32 v39, 0x3dbcf732, v42
	v_add_f32_e32 v34, v34, v41
	v_fma_f32 v41, v42, s14, -v33
	v_fmac_f32_e32 v33, 0xbf7ba420, v42
	v_mul_f32_e32 v79, 0x3f6eb680, v42
	v_add_f32_e32 v30, v30, v33
	v_sub_f32_e32 v33, v39, v59
	v_add_f32_e32 v5, v5, v33
	v_sub_f32_e32 v33, v79, v60
	v_add_f32_e32 v1, v1, v33
	v_mul_f32_e32 v33, 0xbf4c4adb, v40
	v_fma_f32 v39, v28, s8, -v33
	v_fmac_f32_e32 v33, 0xbf1a4643, v28
	v_add_f32_e32 v7, v7, v33
	v_mul_f32_e32 v33, 0x3f763a35, v40
	v_add_f32_e32 v11, v11, v39
	v_fma_f32 v39, v28, s19, -v33
	v_fmac_f32_e32 v33, 0xbe8c1d8e, v28
	v_add_f32_e32 v9, v9, v33
	v_mul_f32_e32 v33, 0xbeb8f4ab, v40
	v_add_f32_e32 v25, v25, v39
	;; [unrolled: 5-line block ×3, first 2 shown]
	v_fma_f32 v39, v28, s9, -v33
	v_fmac_f32_e32 v33, 0xbf59a7d5, v28
	v_add_f32_e32 v27, v27, v33
	v_mul_f32_e32 v33, 0x3f7ee86f, v40
	v_mul_f32_e32 v37, 0x3f3d2fb0, v28
	v_add_f32_e32 v34, v34, v39
	v_fma_f32 v39, v28, s18, -v33
	v_fmac_f32_e32 v33, 0x3dbcf732, v28
	v_mul_f32_e32 v80, 0xbf7ba420, v28
	v_add_f32_e32 v28, v30, v33
	v_sub_f32_e32 v30, v37, v32
	v_mul_f32_e32 v35, 0xbf7ba420, v10
	v_add_f32_e32 v5, v5, v30
	v_sub_f32_e32 v30, v80, v38
	v_mul_f32_e32 v81, 0x3f3d2fb0, v10
	v_add_f32_e32 v1, v1, v30
	v_mul_f32_e32 v30, 0xbf06c442, v26
	v_sub_f32_e32 v22, v35, v22
	v_fma_f32 v32, v10, s9, -v30
	v_fmac_f32_e32 v30, 0xbf59a7d5, v10
	v_add_f32_e32 v5, v22, v5
	v_sub_f32_e32 v22, v81, v24
	v_add_f32_e32 v7, v30, v7
	v_mul_f32_e32 v30, 0x3f65296c, v26
	v_add_f32_e32 v1, v22, v1
	v_mul_f32_e32 v22, 0xbe3c28d5, v8
	v_add_f32_e32 v11, v32, v11
	v_fma_f32 v32, v10, s17, -v30
	v_fmac_f32_e32 v30, 0x3ee437d1, v10
	v_fma_f32 v24, v2, s14, -v22
	v_fmac_f32_e32 v22, 0xbf7ba420, v2
	v_add_f32_e32 v9, v30, v9
	v_mul_f32_e32 v30, 0xbf7ee86f, v26
	v_add_f32_e32 v7, v22, v7
	v_mul_f32_e32 v22, 0x3eb8f4ab, v8
	v_add_f32_e32 v73, v84, v73
	v_add_f32_e32 v25, v32, v25
	v_fma_f32 v32, v10, s18, -v30
	v_fmac_f32_e32 v30, 0x3dbcf732, v10
	v_add_f32_e32 v11, v24, v11
	v_fma_f32 v24, v2, s15, -v22
	v_fmac_f32_e32 v22, 0x3f6eb680, v2
	v_mul_f32_e32 v31, 0x3ee437d1, v2
	v_add_f32_e32 v69, v73, v69
	v_add_f32_e32 v23, v30, v23
	v_mul_f32_e32 v30, 0x3f4c4adb, v26
	v_add_f32_e32 v9, v22, v9
	v_mul_f32_e32 v22, 0xbf06c442, v8
	v_mul_f32_e32 v82, 0xbe8c1d8e, v2
	v_add_f32_e32 v36, v69, v36
	v_add_f32_e32 v29, v32, v29
	v_fma_f32 v32, v10, s8, -v30
	v_fmac_f32_e32 v30, 0xbf1a4643, v10
	v_mul_f32_e32 v26, 0xbeb8f4ab, v26
	v_add_f32_e32 v24, v24, v25
	v_fma_f32 v25, v2, s9, -v22
	v_fmac_f32_e32 v22, 0xbf59a7d5, v2
	v_sub_f32_e32 v4, v31, v4
	v_add_f32_e32 v36, v36, v41
	v_add_f32_e32 v27, v30, v27
	v_fma_f32 v30, v10, s15, -v26
	v_fmac_f32_e32 v26, 0x3f6eb680, v10
	v_add_f32_e32 v22, v22, v23
	v_mul_f32_e32 v23, 0x3f2c7751, v8
	v_add_f32_e32 v4, v4, v5
	v_sub_f32_e32 v5, v82, v6
	v_add_f32_e32 v36, v36, v39
	v_add_f32_e32 v10, v26, v28
	v_fma_f32 v26, v2, s16, -v23
	v_fmac_f32_e32 v23, 0x3f3d2fb0, v2
	v_mul_f32_e32 v8, 0xbf4c4adb, v8
	v_add_f32_e32 v1, v5, v1
	v_lshlrev_b32_e32 v5, 6, v17
	v_add_f32_e32 v32, v32, v34
	v_add_f32_e32 v30, v30, v36
	;; [unrolled: 1-line block ×3, first 2 shown]
	v_fma_f32 v27, v2, s8, -v8
	v_fmac_f32_e32 v8, 0xbf1a4643, v2
	v_add3_u32 v0, v0, v5, v54
	v_add_f32_e32 v25, v25, v29
	v_add_f32_e32 v26, v26, v32
	;; [unrolled: 1-line block ×4, first 2 shown]
	ds_write2_b32 v0, v3, v11 offset1:1
	ds_write2_b32 v0, v24, v25 offset0:2 offset1:3
	ds_write2_b32 v0, v26, v27 offset0:4 offset1:5
	;; [unrolled: 1-line block ×7, first 2 shown]
	ds_write_b32 v0, v7 offset:64
.LBB0_18:
	s_or_b64 exec, exec, s[6:7]
	v_add_u32_e32 v0, 0x200, v55
	v_add_u32_e32 v1, 0x600, v55
	s_waitcnt lgkmcnt(0)
	s_barrier
	ds_read2_b32 v[22:23], v55 offset0:68 offset1:187
	ds_read2_b32 v[24:25], v0 offset0:127 offset1:246
	;; [unrolled: 1-line block ×3, first 2 shown]
	ds_read_b32 v28, v56
	ds_read_b32 v31, v55 offset:2516
	s_and_saveexec_b64 s[2:3], s[0:1]
	s_cbranch_execz .LBB0_20
; %bb.19:
	ds_read2_b32 v[52:53], v0 offset0:8 offset1:195
	v_add_u32_e32 v0, 0x700, v55
	ds_read2_b32 v[50:51], v0 offset0:62 offset1:249
.LBB0_20:
	s_or_b64 exec, exec, s[2:3]
	s_movk_i32 s2, 0xf1
	v_mul_lo_u16_sdwa v0, v17, s2 dst_sel:DWORD dst_unused:UNUSED_PAD src0_sel:BYTE_0 src1_sel:DWORD
	v_lshrrev_b16_e32 v32, 12, v0
	v_mul_lo_u16_e32 v0, 17, v32
	v_sub_u16_e32 v33, v17, v0
	v_mov_b32_e32 v4, 3
	v_mul_u32_u24_sdwa v0, v33, v4 dst_sel:DWORD dst_unused:UNUSED_PAD src0_sel:BYTE_0 src1_sel:DWORD
	v_lshlrev_b32_e32 v5, 3, v0
	global_load_dwordx2 v[35:36], v5, s[12:13] offset:16
	global_load_dwordx4 v[0:3], v5, s[12:13]
	v_add_u16_e32 v5, 0x44, v17
	v_mul_lo_u16_sdwa v6, v5, s2 dst_sel:DWORD dst_unused:UNUSED_PAD src0_sel:BYTE_0 src1_sel:DWORD
	v_lshrrev_b16_e32 v41, 12, v6
	v_mul_lo_u16_e32 v6, 17, v41
	v_sub_u16_e32 v42, v5, v6
	v_mul_u32_u24_sdwa v5, v42, v4 dst_sel:DWORD dst_unused:UNUSED_PAD src0_sel:BYTE_0 src1_sel:DWORD
	v_lshlrev_b32_e32 v5, 3, v5
	global_load_dwordx2 v[37:38], v5, s[12:13] offset:16
	global_load_dwordx4 v[8:11], v5, s[12:13]
	v_add_u16_e32 v5, 0x88, v17
	v_mul_lo_u16_sdwa v6, v5, s2 dst_sel:DWORD dst_unused:UNUSED_PAD src0_sel:BYTE_0 src1_sel:DWORD
	v_lshrrev_b16_e32 v29, 12, v6
	v_mul_lo_u16_e32 v6, 17, v29
	v_sub_u16_e32 v30, v5, v6
	v_mul_u32_u24_sdwa v4, v30, v4 dst_sel:DWORD dst_unused:UNUSED_PAD src0_sel:BYTE_0 src1_sel:DWORD
	v_lshlrev_b32_e32 v34, 3, v4
	global_load_dwordx4 v[4:7], v34, s[12:13]
	global_load_dwordx2 v[39:40], v34, s[12:13] offset:16
	s_movk_i32 s6, 0x110
	v_mov_b32_e32 v34, 2
	v_mad_u32_u24 v32, v32, s6, 0
	v_mad_u32_u24 v41, v41, s6, 0
	v_lshlrev_b32_sdwa v33, v34, v33 dst_sel:DWORD dst_unused:UNUSED_PAD src0_sel:DWORD src1_sel:BYTE_0
	v_lshlrev_b32_sdwa v42, v34, v42 dst_sel:DWORD dst_unused:UNUSED_PAD src0_sel:DWORD src1_sel:BYTE_0
	v_add3_u32 v33, v32, v33, v54
	v_add3_u32 v32, v41, v42, v54
	s_waitcnt vmcnt(0) lgkmcnt(0)
	s_barrier
	v_mul_f32_e32 v43, v27, v36
	v_mul_f32_e32 v41, v23, v1
	;; [unrolled: 1-line block ×5, first 2 shown]
	v_fmac_f32_e32 v41, v49, v0
	v_fmac_f32_e32 v42, v45, v2
	;; [unrolled: 1-line block ×3, first 2 shown]
	v_mul_f32_e32 v62, v31, v38
	v_mul_f32_e32 v59, v24, v9
	v_mul_f32_e32 v61, v26, v11
	v_mul_f32_e32 v60, v44, v9
	v_mul_f32_e32 v38, v58, v38
	v_fmac_f32_e32 v59, v44, v8
	v_fmac_f32_e32 v61, v46, v10
	;; [unrolled: 1-line block ×3, first 2 shown]
	v_mul_f32_e32 v9, v53, v5
	v_mul_f32_e32 v5, v21, v5
	;; [unrolled: 1-line block ×4, first 2 shown]
	v_fma_f32 v1, v23, v0, -v1
	v_fma_f32 v23, v27, v35, -v36
	;; [unrolled: 1-line block ×4, first 2 shown]
	v_fmac_f32_e32 v9, v21, v4
	v_fma_f32 v21, v53, v4, -v5
	v_sub_f32_e32 v27, v57, v42
	v_sub_f32_e32 v5, v41, v43
	;; [unrolled: 1-line block ×4, first 2 shown]
	v_fmac_f32_e32 v63, v19, v39
	v_fma_f32 v24, v51, v39, -v40
	v_sub_f32_e32 v19, v1, v23
	v_sub_f32_e32 v8, v0, v8
	v_fma_f32 v35, v57, 2.0, -v27
	v_fma_f32 v36, v41, 2.0, -v5
	;; [unrolled: 1-line block ×4, first 2 shown]
	v_sub_f32_e32 v23, v9, v63
	v_sub_f32_e32 v24, v21, v24
	v_add_f32_e32 v37, v27, v19
	v_add_f32_e32 v40, v31, v8
	v_sub_f32_e32 v36, v35, v36
	v_sub_f32_e32 v39, v38, v39
	v_fma_f32 v27, v27, 2.0, -v37
	v_fma_f32 v31, v31, 2.0, -v40
	v_fma_f32 v35, v35, 2.0, -v36
	v_fma_f32 v38, v38, 2.0, -v39
	ds_write2_b32 v33, v36, v37 offset0:34 offset1:51
	ds_write2_b32 v33, v35, v27 offset1:17
	ds_write2_b32 v32, v38, v31 offset1:17
	ds_write2_b32 v32, v39, v40 offset0:34 offset1:51
	s_and_saveexec_b64 s[2:3], s[0:1]
	s_cbranch_execz .LBB0_22
; %bb.21:
	v_mul_f32_e32 v27, v50, v7
	v_fmac_f32_e32 v27, v18, v6
	v_sub_f32_e32 v27, v20, v27
	v_add_f32_e32 v31, v27, v24
	v_fma_f32 v20, v20, 2.0, -v27
	v_fma_f32 v9, v9, 2.0, -v23
	v_fma_f32 v35, v27, 2.0, -v31
	v_sub_f32_e32 v9, v20, v9
	v_mad_u32_u24 v27, v29, s6, 0
	v_lshlrev_b32_sdwa v34, v34, v30 dst_sel:DWORD dst_unused:UNUSED_PAD src0_sel:DWORD src1_sel:BYTE_0
	v_fma_f32 v20, v20, 2.0, -v9
	v_add3_u32 v27, v27, v34, v54
	ds_write2_b32 v27, v20, v35 offset1:17
	ds_write2_b32 v27, v9, v31 offset0:34 offset1:51
.LBB0_22:
	s_or_b64 exec, exec, s[2:3]
	v_mul_f32_e32 v3, v45, v3
	v_fma_f32 v2, v25, v2, -v3
	v_mul_f32_e32 v3, v46, v11
	v_sub_f32_e32 v2, v28, v2
	v_fma_f32 v3, v26, v10, -v3
	v_fma_f32 v9, v28, 2.0, -v2
	v_fma_f32 v1, v1, 2.0, -v19
	v_sub_f32_e32 v20, v9, v1
	v_sub_f32_e32 v26, v2, v5
	;; [unrolled: 1-line block ×3, first 2 shown]
	v_fma_f32 v27, v2, 2.0, -v26
	v_fma_f32 v2, v22, 2.0, -v1
	;; [unrolled: 1-line block ×3, first 2 shown]
	v_sub_f32_e32 v22, v2, v0
	v_add_u32_e32 v0, 0x200, v55
	v_fma_f32 v25, v9, 2.0, -v20
	v_fma_f32 v28, v2, 2.0, -v22
	v_sub_f32_e32 v31, v1, v4
	s_waitcnt lgkmcnt(0)
	s_barrier
	ds_read_b32 v19, v56
	ds_read2_b32 v[8:9], v55 offset0:68 offset1:136
	ds_read2_b32 v[2:3], v0 offset0:76 offset1:144
	v_add_u32_e32 v0, 0x400, v55
	v_add_u32_e32 v4, 0x600, v55
	v_add_u32_e32 v10, 0x800, v55
	v_fma_f32 v34, v1, 2.0, -v31
	ds_read2_b32 v[0:1], v0 offset0:84 offset1:152
	ds_read2_b32 v[4:5], v4 offset0:92 offset1:160
	;; [unrolled: 1-line block ×3, first 2 shown]
	s_waitcnt lgkmcnt(0)
	s_barrier
	ds_write2_b32 v33, v25, v27 offset1:17
	ds_write2_b32 v33, v20, v26 offset0:34 offset1:51
	ds_write2_b32 v32, v28, v34 offset1:17
	ds_write2_b32 v32, v22, v31 offset0:34 offset1:51
	s_and_saveexec_b64 s[2:3], s[0:1]
	s_cbranch_execz .LBB0_24
; %bb.23:
	v_mul_f32_e32 v7, v18, v7
	v_fma_f32 v6, v50, v6, -v7
	v_sub_f32_e32 v6, v52, v6
	v_fma_f32 v7, v52, 2.0, -v6
	v_fma_f32 v18, v21, 2.0, -v24
	s_movk_i32 s0, 0x110
	v_mov_b32_e32 v22, 2
	v_sub_f32_e32 v18, v7, v18
	v_sub_f32_e32 v20, v6, v23
	v_mad_u32_u24 v21, v29, s0, 0
	v_lshlrev_b32_sdwa v22, v22, v30 dst_sel:DWORD dst_unused:UNUSED_PAD src0_sel:DWORD src1_sel:BYTE_0
	v_fma_f32 v7, v7, 2.0, -v18
	v_fma_f32 v6, v6, 2.0, -v20
	v_add3_u32 v21, v21, v22, v54
	ds_write2_b32 v21, v7, v6 offset1:17
	ds_write2_b32 v21, v18, v20 offset0:34 offset1:51
.LBB0_24:
	s_or_b64 exec, exec, s[2:3]
	s_waitcnt lgkmcnt(0)
	s_barrier
	s_and_saveexec_b64 s[0:1], vcc
	s_cbranch_execz .LBB0_26
; %bb.25:
	v_mul_u32_u24_e32 v6, 10, v17
	v_lshlrev_b32_e32 v6, 3, v6
	global_load_dwordx4 v[20:23], v6, s[12:13] offset:408
	global_load_dwordx4 v[24:27], v6, s[12:13] offset:472
	;; [unrolled: 1-line block ×5, first 2 shown]
	v_mul_lo_u32 v46, s5, v15
	v_mul_lo_u32 v47, s4, v16
	v_mad_u64_u32 v[6:7], s[0:1], s4, v15, 0
	ds_read2_b32 v[15:16], v55 offset0:68 offset1:136
	v_add_u32_e32 v17, 0x800, v55
	v_add_u32_e32 v40, 0x200, v55
	v_add_u32_e32 v42, 0x600, v55
	v_add_u32_e32 v44, 0x400, v55
	ds_read_b32 v48, v56
	ds_read2_b32 v[17:18], v17 offset0:100 offset1:168
	ds_read2_b32 v[40:41], v40 offset0:76 offset1:144
	;; [unrolled: 1-line block ×4, first 2 shown]
	v_add3_u32 v7, v7, v47, v46
	s_mov_b32 s0, 0x3f575c64
	s_mov_b32 s1, 0x3ed4b147
	;; [unrolled: 1-line block ×5, first 2 shown]
	v_lshlrev_b64 v[6:7], 3, v[6:7]
	s_waitcnt vmcnt(4)
	v_mul_f32_e32 v46, v8, v20
	s_waitcnt vmcnt(3)
	v_mul_f32_e32 v47, v11, v26
	v_mul_f32_e32 v49, v9, v22
	v_mul_f32_e32 v50, v10, v24
	v_mul_f32_e32 v10, v10, v25
	s_waitcnt lgkmcnt(5)
	v_fmac_f32_e32 v46, v15, v21
	s_waitcnt lgkmcnt(3)
	v_fmac_f32_e32 v47, v18, v27
	v_mul_f32_e32 v11, v11, v27
	v_mul_f32_e32 v8, v8, v21
	s_waitcnt vmcnt(2)
	v_mul_f32_e32 v51, v2, v28
	s_waitcnt vmcnt(1)
	v_mul_f32_e32 v52, v5, v34
	v_mul_f32_e32 v54, v4, v32
	s_waitcnt vmcnt(0)
	v_mul_f32_e32 v55, v0, v36
	v_mul_f32_e32 v0, v0, v37
	v_fmac_f32_e32 v49, v16, v23
	v_fmac_f32_e32 v50, v17, v25
	v_fma_f32 v57, v17, v24, -v10
	v_sub_f32_e32 v10, v46, v47
	v_mul_f32_e32 v9, v9, v23
	v_mul_f32_e32 v53, v3, v30
	;; [unrolled: 1-line block ×3, first 2 shown]
	v_fma_f32 v18, v18, v26, -v11
	v_fma_f32 v15, v15, v20, -v8
	s_waitcnt lgkmcnt(2)
	v_fmac_f32_e32 v51, v40, v29
	s_waitcnt lgkmcnt(1)
	v_fmac_f32_e32 v52, v43, v35
	v_fmac_f32_e32 v54, v42, v33
	s_waitcnt lgkmcnt(0)
	v_fma_f32 v33, v44, v36, -v0
	v_sub_f32_e32 v11, v49, v50
	v_mul_f32_e32 v36, 0xbf0a6770, v10
	v_mul_f32_e32 v5, v5, v35
	;; [unrolled: 1-line block ×5, first 2 shown]
	v_fma_f32 v58, v16, v22, -v9
	v_fmac_f32_e32 v53, v41, v31
	v_fmac_f32_e32 v55, v44, v37
	v_add_f32_e32 v26, v15, v18
	v_sub_f32_e32 v16, v51, v52
	v_mul_f32_e32 v37, 0xbf68dda4, v11
	v_mov_b32_e32 v0, v36
	v_mul_f32_e32 v3, v3, v31
	v_fma_f32 v29, v43, v34, -v5
	v_fma_f32 v28, v40, v28, -v2
	;; [unrolled: 1-line block ×3, first 2 shown]
	v_fmac_f32_e32 v56, v45, v39
	v_fma_f32 v32, v45, v38, -v1
	v_add_f32_e32 v27, v58, v57
	v_sub_f32_e32 v17, v53, v54
	v_mul_f32_e32 v38, 0xbf7d64f0, v16
	v_mov_b32_e32 v1, v37
	v_fmac_f32_e32 v0, 0x3f575c64, v26
	v_fma_f32 v30, v41, v30, -v3
	v_add_f32_e32 v34, v28, v29
	v_sub_f32_e32 v20, v55, v56
	v_mul_f32_e32 v39, 0xbf4178ce, v17
	v_mov_b32_e32 v2, v38
	v_fmac_f32_e32 v1, 0x3ed4b147, v27
	v_add_f32_e32 v0, v48, v0
	v_add_f32_e32 v35, v30, v31
	v_mul_f32_e32 v40, 0xbe903f40, v20
	v_mov_b32_e32 v3, v39
	v_fmac_f32_e32 v2, 0xbe11bafb, v34
	v_add_f32_e32 v0, v0, v1
	v_fmac_f32_e32 v3, 0xbf27a4f4, v35
	v_add_f32_e32 v0, v0, v2
	v_add_f32_e32 v41, v33, v32
	v_mov_b32_e32 v1, v40
	v_sub_f32_e32 v21, v15, v18
	v_add_f32_e32 v0, v0, v3
	v_fmac_f32_e32 v1, 0xbf75a155, v41
	v_add_f32_e32 v42, v46, v47
	v_mul_f32_e32 v43, 0xbf0a6770, v21
	v_sub_f32_e32 v22, v58, v57
	v_add_f32_e32 v1, v0, v1
	v_fma_f32 v0, v42, s0, -v43
	v_add_f32_e32 v44, v49, v50
	v_mul_f32_e32 v45, 0xbf68dda4, v22
	v_sub_f32_e32 v23, v28, v29
	v_add_f32_e32 v0, v19, v0
	v_fma_f32 v2, v44, s1, -v45
	;; [unrolled: 5-line block ×4, first 2 shown]
	v_add_f32_e32 v63, v55, v56
	v_mul_f32_e32 v64, 0xbe903f40, v25
	v_add_f32_e32 v0, v0, v2
	v_fma_f32 v2, v63, s4, -v64
	v_mul_f32_e32 v65, 0xbf68dda4, v10
	v_add_f32_e32 v0, v0, v2
	v_mov_b32_e32 v2, v65
	v_mul_f32_e32 v66, 0xbf4178ce, v11
	v_fmac_f32_e32 v2, 0x3ed4b147, v26
	v_mov_b32_e32 v3, v66
	v_add_f32_e32 v2, v48, v2
	v_fmac_f32_e32 v3, 0xbf27a4f4, v27
	v_mul_f32_e32 v67, 0x3e903f40, v16
	v_add_f32_e32 v2, v2, v3
	v_mov_b32_e32 v3, v67
	v_fmac_f32_e32 v3, 0xbf75a155, v34
	v_mul_f32_e32 v68, 0x3f7d64f0, v17
	v_add_f32_e32 v2, v2, v3
	v_mov_b32_e32 v3, v68
	;; [unrolled: 4-line block ×3, first 2 shown]
	v_fmac_f32_e32 v3, 0x3f575c64, v41
	v_mul_f32_e32 v70, 0xbf68dda4, v21
	v_add_f32_e32 v3, v2, v3
	v_fma_f32 v2, v42, s1, -v70
	v_mul_f32_e32 v71, 0xbf4178ce, v22
	v_add_f32_e32 v2, v19, v2
	v_fma_f32 v4, v44, s3, -v71
	v_mul_f32_e32 v72, 0x3e903f40, v23
	v_add_f32_e32 v2, v2, v4
	v_fma_f32 v4, v59, s4, -v72
	v_mul_f32_e32 v73, 0x3f7d64f0, v24
	v_add_f32_e32 v2, v2, v4
	v_fma_f32 v4, v61, s2, -v73
	v_mul_f32_e32 v74, 0x3f0a6770, v25
	v_add_f32_e32 v2, v2, v4
	v_fma_f32 v4, v63, s0, -v74
	v_mul_f32_e32 v75, 0xbf7d64f0, v10
	v_add_f32_e32 v2, v2, v4
	v_mov_b32_e32 v4, v75
	v_mul_f32_e32 v76, 0x3e903f40, v11
	v_fmac_f32_e32 v4, 0xbe11bafb, v26
	v_mov_b32_e32 v5, v76
	v_add_f32_e32 v4, v48, v4
	v_fmac_f32_e32 v5, 0xbf75a155, v27
	v_mul_f32_e32 v77, 0x3f68dda4, v16
	v_add_f32_e32 v4, v4, v5
	v_mov_b32_e32 v5, v77
	v_fmac_f32_e32 v5, 0x3ed4b147, v34
	v_mul_f32_e32 v78, 0xbf0a6770, v17
	v_add_f32_e32 v4, v4, v5
	v_mov_b32_e32 v5, v78
	;; [unrolled: 4-line block ×3, first 2 shown]
	v_fmac_f32_e32 v5, 0xbf27a4f4, v41
	v_mul_f32_e32 v80, 0xbf7d64f0, v21
	v_add_f32_e32 v5, v4, v5
	v_fma_f32 v4, v42, s2, -v80
	v_mul_f32_e32 v81, 0x3e903f40, v22
	v_add_f32_e32 v4, v19, v4
	v_fma_f32 v8, v44, s4, -v81
	;; [unrolled: 3-line block ×5, first 2 shown]
	v_mul_f32_e32 v85, 0xbf4178ce, v10
	v_add_f32_e32 v4, v4, v8
	v_mov_b32_e32 v8, v85
	v_mul_f32_e32 v86, 0x3f7d64f0, v11
	v_fmac_f32_e32 v8, 0xbf27a4f4, v26
	v_mov_b32_e32 v9, v86
	v_add_f32_e32 v8, v48, v8
	v_fmac_f32_e32 v9, 0xbe11bafb, v27
	v_mul_f32_e32 v87, 0xbf0a6770, v16
	v_add_f32_e32 v8, v8, v9
	v_mov_b32_e32 v9, v87
	v_fmac_f32_e32 v9, 0x3f575c64, v34
	v_mul_f32_e32 v88, 0xbe903f40, v17
	v_add_f32_e32 v8, v8, v9
	v_mov_b32_e32 v9, v88
	v_fmac_f32_e32 v9, 0xbf75a155, v35
	v_mul_f32_e32 v89, 0x3f68dda4, v20
	v_add_f32_e32 v8, v8, v9
	v_mov_b32_e32 v9, v89
	v_fmac_f32_e32 v9, 0x3ed4b147, v41
	v_mul_f32_e32 v90, 0xbf4178ce, v21
	v_add_f32_e32 v9, v8, v9
	v_fma_f32 v8, v42, s3, -v90
	v_mul_f32_e32 v91, 0x3f7d64f0, v22
	v_add_f32_e32 v8, v19, v8
	v_fma_f32 v92, v44, s2, -v91
	v_add_f32_e32 v8, v8, v92
	v_mul_f32_e32 v92, 0xbf0a6770, v23
	v_fma_f32 v93, v59, s0, -v92
	v_add_f32_e32 v8, v8, v93
	v_mul_f32_e32 v93, 0xbe903f40, v24
	v_fma_f32 v94, v61, s4, -v93
	v_add_f32_e32 v8, v8, v94
	v_mul_f32_e32 v94, 0x3f68dda4, v25
	v_fma_f32 v95, v63, s1, -v94
	v_add_f32_e32 v8, v8, v95
	v_mul_f32_e32 v95, 0xbe903f40, v10
	v_mov_b32_e32 v10, v95
	v_mul_f32_e32 v96, 0x3f0a6770, v11
	v_fmac_f32_e32 v10, 0xbf75a155, v26
	v_mov_b32_e32 v11, v96
	v_add_f32_e32 v10, v48, v10
	v_fmac_f32_e32 v11, 0x3f575c64, v27
	v_mul_f32_e32 v16, 0xbf4178ce, v16
	v_add_f32_e32 v10, v10, v11
	v_mov_b32_e32 v11, v16
	v_add_f32_e32 v15, v15, v48
	v_fmac_f32_e32 v11, 0xbf27a4f4, v34
	v_mul_f32_e32 v17, 0x3f68dda4, v17
	v_add_f32_e32 v15, v15, v58
	v_add_f32_e32 v10, v10, v11
	v_mov_b32_e32 v11, v17
	v_fma_f32 v95, v26, s4, -v95
	v_add_f32_e32 v15, v15, v28
	v_fmac_f32_e32 v11, 0x3ed4b147, v35
	v_mul_f32_e32 v20, 0xbf7d64f0, v20
	v_add_f32_e32 v95, v48, v95
	v_fma_f32 v96, v27, s0, -v96
	v_add_f32_e32 v15, v15, v30
	v_add_f32_e32 v10, v10, v11
	v_mov_b32_e32 v11, v20
	v_add_f32_e32 v95, v95, v96
	v_fma_f32 v16, v34, s3, -v16
	v_add_f32_e32 v15, v15, v33
	v_fmac_f32_e32 v11, 0xbe11bafb, v41
	v_mul_f32_e32 v21, 0xbe903f40, v21
	v_add_f32_e32 v16, v95, v16
	v_fma_f32 v17, v35, s1, -v17
	v_add_f32_e32 v15, v15, v32
	v_add_f32_e32 v11, v10, v11
	v_fma_f32 v10, v42, s4, -v21
	v_mul_f32_e32 v22, 0x3f0a6770, v22
	v_add_f32_e32 v16, v16, v17
	v_fma_f32 v17, v41, s2, -v20
	v_fmac_f32_e32 v21, 0xbf75a155, v42
	v_add_f32_e32 v15, v31, v15
	v_add_f32_e32 v10, v19, v10
	v_fma_f32 v97, v44, s0, -v22
	v_mul_f32_e32 v23, 0xbf4178ce, v23
	v_add_f32_e32 v17, v16, v17
	v_add_f32_e32 v16, v19, v21
	v_fmac_f32_e32 v22, 0x3f575c64, v44
	v_add_f32_e32 v15, v29, v15
	v_add_f32_e32 v10, v10, v97
	v_fma_f32 v97, v59, s3, -v23
	v_mul_f32_e32 v24, 0x3f68dda4, v24
	v_add_f32_e32 v16, v16, v22
	v_fmac_f32_e32 v23, 0xbf27a4f4, v59
	v_add_f32_e32 v15, v57, v15
	v_add_f32_e32 v10, v10, v97
	v_fma_f32 v97, v61, s1, -v24
	v_mul_f32_e32 v25, 0xbf7d64f0, v25
	v_add_f32_e32 v16, v16, v23
	v_fmac_f32_e32 v24, 0x3ed4b147, v61
	v_add_f32_e32 v29, v18, v15
	v_add_f32_e32 v15, v19, v46
	;; [unrolled: 1-line block ×3, first 2 shown]
	v_fma_f32 v97, v63, s2, -v25
	v_add_f32_e32 v16, v16, v24
	v_fmac_f32_e32 v25, 0xbe11bafb, v63
	v_fma_f32 v20, v26, s3, -v85
	v_fma_f32 v22, v26, s2, -v75
	;; [unrolled: 1-line block ×4, first 2 shown]
	v_add_f32_e32 v15, v15, v49
	v_add_f32_e32 v16, v16, v25
	;; [unrolled: 1-line block ×3, first 2 shown]
	v_fma_f32 v21, v27, s2, -v86
	v_add_f32_e32 v22, v48, v22
	v_fma_f32 v23, v27, s4, -v76
	v_add_f32_e32 v24, v48, v24
	v_fma_f32 v25, v27, s3, -v66
	v_add_f32_e32 v26, v48, v26
	v_fma_f32 v27, v27, s1, -v37
	v_add_f32_e32 v15, v15, v51
	v_add_f32_e32 v20, v20, v21
	v_fma_f32 v21, v34, s0, -v87
	v_add_f32_e32 v22, v22, v23
	v_fma_f32 v23, v34, s1, -v77
	v_add_f32_e32 v24, v24, v25
	v_fma_f32 v25, v34, s4, -v67
	v_add_f32_e32 v26, v26, v27
	v_fma_f32 v27, v34, s2, -v38
	v_add_f32_e32 v15, v15, v53
	v_add_f32_e32 v20, v20, v21
	;; [unrolled: 9-line block ×3, first 2 shown]
	v_fma_f32 v21, v41, s1, -v89
	v_fmac_f32_e32 v90, 0xbf27a4f4, v42
	v_add_f32_e32 v22, v22, v23
	v_fma_f32 v23, v41, s3, -v79
	v_fmac_f32_e32 v80, 0xbe11bafb, v42
	v_add_f32_e32 v24, v24, v25
	;; [unrolled: 3-line block ×4, first 2 shown]
	v_add_f32_e32 v21, v20, v21
	v_add_f32_e32 v20, v19, v90
	;; [unrolled: 1-line block ×9, first 2 shown]
	v_mov_b32_e32 v18, s11
	v_add_co_u32_e32 v19, vcc, s10, v6
	v_add_f32_e32 v15, v52, v15
	v_addc_co_u32_e32 v18, vcc, v18, v7, vcc
	v_lshlrev_b64 v[6:7], 3, v[12:13]
	v_add_f32_e32 v15, v50, v15
	v_add_f32_e32 v28, v47, v15
	v_mov_b32_e32 v15, 0
	v_add_co_u32_e32 v12, vcc, v19, v6
	v_fmac_f32_e32 v91, 0xbe11bafb, v44
	v_fmac_f32_e32 v81, 0xbf75a155, v44
	;; [unrolled: 1-line block ×4, first 2 shown]
	v_addc_co_u32_e32 v13, vcc, v18, v7, vcc
	v_lshlrev_b64 v[6:7], 3, v[14:15]
	v_add_f32_e32 v20, v20, v91
	v_fmac_f32_e32 v92, 0x3f575c64, v59
	v_add_f32_e32 v22, v22, v81
	v_fmac_f32_e32 v82, 0x3ed4b147, v59
	;; [unrolled: 2-line block ×8, first 2 shown]
	v_add_co_u32_e32 v6, vcc, v12, v6
	v_add_f32_e32 v20, v20, v93
	v_fmac_f32_e32 v94, 0x3ed4b147, v63
	v_add_f32_e32 v22, v22, v83
	v_fmac_f32_e32 v84, 0xbf27a4f4, v63
	;; [unrolled: 2-line block ×4, first 2 shown]
	v_addc_co_u32_e32 v7, vcc, v13, v7, vcc
	v_add_f32_e32 v10, v10, v97
	v_add_f32_e32 v20, v20, v94
	;; [unrolled: 1-line block ×5, first 2 shown]
	global_store_dwordx2 v[6:7], v[28:29], off
	global_store_dwordx2 v[6:7], v[26:27], off offset:544
	global_store_dwordx2 v[6:7], v[24:25], off offset:1088
	;; [unrolled: 1-line block ×7, first 2 shown]
	v_add_co_u32_e32 v6, vcc, 0x1000, v6
	v_addc_co_u32_e32 v7, vcc, 0, v7, vcc
	global_store_dwordx2 v[6:7], v[4:5], off offset:256
	global_store_dwordx2 v[6:7], v[2:3], off offset:800
	;; [unrolled: 1-line block ×3, first 2 shown]
.LBB0_26:
	s_endpgm
	.section	.rodata,"a",@progbits
	.p2align	6, 0x0
	.amdhsa_kernel fft_rtc_back_len748_factors_17_4_11_wgs_204_tpt_68_halfLds_sp_op_CI_CI_unitstride_sbrr_dirReg
		.amdhsa_group_segment_fixed_size 0
		.amdhsa_private_segment_fixed_size 0
		.amdhsa_kernarg_size 104
		.amdhsa_user_sgpr_count 6
		.amdhsa_user_sgpr_private_segment_buffer 1
		.amdhsa_user_sgpr_dispatch_ptr 0
		.amdhsa_user_sgpr_queue_ptr 0
		.amdhsa_user_sgpr_kernarg_segment_ptr 1
		.amdhsa_user_sgpr_dispatch_id 0
		.amdhsa_user_sgpr_flat_scratch_init 0
		.amdhsa_user_sgpr_private_segment_size 0
		.amdhsa_uses_dynamic_stack 0
		.amdhsa_system_sgpr_private_segment_wavefront_offset 0
		.amdhsa_system_sgpr_workgroup_id_x 1
		.amdhsa_system_sgpr_workgroup_id_y 0
		.amdhsa_system_sgpr_workgroup_id_z 0
		.amdhsa_system_sgpr_workgroup_info 0
		.amdhsa_system_vgpr_workitem_id 0
		.amdhsa_next_free_vgpr 98
		.amdhsa_next_free_sgpr 28
		.amdhsa_reserve_vcc 1
		.amdhsa_reserve_flat_scratch 0
		.amdhsa_float_round_mode_32 0
		.amdhsa_float_round_mode_16_64 0
		.amdhsa_float_denorm_mode_32 3
		.amdhsa_float_denorm_mode_16_64 3
		.amdhsa_dx10_clamp 1
		.amdhsa_ieee_mode 1
		.amdhsa_fp16_overflow 0
		.amdhsa_exception_fp_ieee_invalid_op 0
		.amdhsa_exception_fp_denorm_src 0
		.amdhsa_exception_fp_ieee_div_zero 0
		.amdhsa_exception_fp_ieee_overflow 0
		.amdhsa_exception_fp_ieee_underflow 0
		.amdhsa_exception_fp_ieee_inexact 0
		.amdhsa_exception_int_div_zero 0
	.end_amdhsa_kernel
	.text
.Lfunc_end0:
	.size	fft_rtc_back_len748_factors_17_4_11_wgs_204_tpt_68_halfLds_sp_op_CI_CI_unitstride_sbrr_dirReg, .Lfunc_end0-fft_rtc_back_len748_factors_17_4_11_wgs_204_tpt_68_halfLds_sp_op_CI_CI_unitstride_sbrr_dirReg
                                        ; -- End function
	.section	.AMDGPU.csdata,"",@progbits
; Kernel info:
; codeLenInByte = 10340
; NumSgprs: 32
; NumVgprs: 98
; ScratchSize: 0
; MemoryBound: 0
; FloatMode: 240
; IeeeMode: 1
; LDSByteSize: 0 bytes/workgroup (compile time only)
; SGPRBlocks: 3
; VGPRBlocks: 24
; NumSGPRsForWavesPerEU: 32
; NumVGPRsForWavesPerEU: 98
; Occupancy: 2
; WaveLimiterHint : 1
; COMPUTE_PGM_RSRC2:SCRATCH_EN: 0
; COMPUTE_PGM_RSRC2:USER_SGPR: 6
; COMPUTE_PGM_RSRC2:TRAP_HANDLER: 0
; COMPUTE_PGM_RSRC2:TGID_X_EN: 1
; COMPUTE_PGM_RSRC2:TGID_Y_EN: 0
; COMPUTE_PGM_RSRC2:TGID_Z_EN: 0
; COMPUTE_PGM_RSRC2:TIDIG_COMP_CNT: 0
	.type	__hip_cuid_b2ac9248b0baf440,@object ; @__hip_cuid_b2ac9248b0baf440
	.section	.bss,"aw",@nobits
	.globl	__hip_cuid_b2ac9248b0baf440
__hip_cuid_b2ac9248b0baf440:
	.byte	0                               ; 0x0
	.size	__hip_cuid_b2ac9248b0baf440, 1

	.ident	"AMD clang version 19.0.0git (https://github.com/RadeonOpenCompute/llvm-project roc-6.4.0 25133 c7fe45cf4b819c5991fe208aaa96edf142730f1d)"
	.section	".note.GNU-stack","",@progbits
	.addrsig
	.addrsig_sym __hip_cuid_b2ac9248b0baf440
	.amdgpu_metadata
---
amdhsa.kernels:
  - .args:
      - .actual_access:  read_only
        .address_space:  global
        .offset:         0
        .size:           8
        .value_kind:     global_buffer
      - .offset:         8
        .size:           8
        .value_kind:     by_value
      - .actual_access:  read_only
        .address_space:  global
        .offset:         16
        .size:           8
        .value_kind:     global_buffer
      - .actual_access:  read_only
        .address_space:  global
        .offset:         24
        .size:           8
        .value_kind:     global_buffer
      - .actual_access:  read_only
        .address_space:  global
        .offset:         32
        .size:           8
        .value_kind:     global_buffer
      - .offset:         40
        .size:           8
        .value_kind:     by_value
      - .actual_access:  read_only
        .address_space:  global
        .offset:         48
        .size:           8
        .value_kind:     global_buffer
      - .actual_access:  read_only
        .address_space:  global
        .offset:         56
        .size:           8
        .value_kind:     global_buffer
      - .offset:         64
        .size:           4
        .value_kind:     by_value
      - .actual_access:  read_only
        .address_space:  global
        .offset:         72
        .size:           8
        .value_kind:     global_buffer
      - .actual_access:  read_only
        .address_space:  global
        .offset:         80
        .size:           8
        .value_kind:     global_buffer
      - .actual_access:  read_only
        .address_space:  global
        .offset:         88
        .size:           8
        .value_kind:     global_buffer
      - .actual_access:  write_only
        .address_space:  global
        .offset:         96
        .size:           8
        .value_kind:     global_buffer
    .group_segment_fixed_size: 0
    .kernarg_segment_align: 8
    .kernarg_segment_size: 104
    .language:       OpenCL C
    .language_version:
      - 2
      - 0
    .max_flat_workgroup_size: 204
    .name:           fft_rtc_back_len748_factors_17_4_11_wgs_204_tpt_68_halfLds_sp_op_CI_CI_unitstride_sbrr_dirReg
    .private_segment_fixed_size: 0
    .sgpr_count:     32
    .sgpr_spill_count: 0
    .symbol:         fft_rtc_back_len748_factors_17_4_11_wgs_204_tpt_68_halfLds_sp_op_CI_CI_unitstride_sbrr_dirReg.kd
    .uniform_work_group_size: 1
    .uses_dynamic_stack: false
    .vgpr_count:     98
    .vgpr_spill_count: 0
    .wavefront_size: 64
amdhsa.target:   amdgcn-amd-amdhsa--gfx906
amdhsa.version:
  - 1
  - 2
...

	.end_amdgpu_metadata
